;; amdgpu-corpus repo=ROCm/rocFFT kind=compiled arch=gfx906 opt=O3
	.text
	.amdgcn_target "amdgcn-amd-amdhsa--gfx906"
	.amdhsa_code_object_version 6
	.protected	bluestein_single_fwd_len625_dim1_sp_op_CI_CI ; -- Begin function bluestein_single_fwd_len625_dim1_sp_op_CI_CI
	.globl	bluestein_single_fwd_len625_dim1_sp_op_CI_CI
	.p2align	8
	.type	bluestein_single_fwd_len625_dim1_sp_op_CI_CI,@function
bluestein_single_fwd_len625_dim1_sp_op_CI_CI: ; @bluestein_single_fwd_len625_dim1_sp_op_CI_CI
; %bb.0:
	s_load_dwordx4 s[12:15], s[4:5], 0x28
	v_mul_u32_u24_e32 v1, 0x20d, v0
	v_add_u32_sdwa v24, s6, v1 dst_sel:DWORD dst_unused:UNUSED_PAD src0_sel:DWORD src1_sel:WORD_1
	v_mov_b32_e32 v25, 0
	s_waitcnt lgkmcnt(0)
	v_cmp_gt_u64_e32 vcc, s[12:13], v[24:25]
	s_and_saveexec_b64 s[0:1], vcc
	s_cbranch_execz .LBB0_2
; %bb.1:
	s_load_dwordx4 s[0:3], s[4:5], 0x18
	s_load_dwordx4 s[8:11], s[4:5], 0x0
	s_movk_i32 s6, 0xcd
	s_waitcnt lgkmcnt(0)
	s_load_dwordx4 s[16:19], s[0:1], 0x0
	s_movk_i32 s0, 0x7d
	v_mul_lo_u16_sdwa v1, v1, s0 dst_sel:DWORD dst_unused:UNUSED_PAD src0_sel:WORD_1 src1_sel:DWORD
	v_sub_u16_e32 v36, v0, v1
	v_lshlrev_b32_e32 v35, 3, v36
	s_waitcnt lgkmcnt(0)
	v_mad_u64_u32 v[0:1], s[0:1], s18, v24, 0
	v_mad_u64_u32 v[2:3], s[0:1], s16, v36, 0
	v_add_u32_e32 v37, 0x400, v35
	v_mad_u64_u32 v[4:5], s[0:1], s19, v24, v[1:2]
	v_mad_u64_u32 v[5:6], s[0:1], s17, v36, v[3:4]
	v_mov_b32_e32 v1, v4
	v_lshlrev_b64 v[0:1], 3, v[0:1]
	v_mov_b32_e32 v6, s15
	v_mov_b32_e32 v3, v5
	v_add_co_u32_e32 v4, vcc, s14, v0
	v_addc_co_u32_e32 v5, vcc, v6, v1, vcc
	v_lshlrev_b64 v[0:1], 3, v[2:3]
	s_mul_i32 s0, s17, 0x3e8
	v_add_co_u32_e32 v0, vcc, v4, v0
	s_mul_hi_u32 s1, s16, 0x3e8
	v_addc_co_u32_e32 v1, vcc, v5, v1, vcc
	s_add_i32 s0, s1, s0
	s_mul_i32 s1, s16, 0x3e8
	global_load_dwordx2 v[2:3], v[0:1], off
	v_mov_b32_e32 v4, s0
	v_add_co_u32_e32 v0, vcc, s1, v0
	v_addc_co_u32_e32 v1, vcc, v1, v4, vcc
	global_load_dwordx2 v[4:5], v[0:1], off
	v_mov_b32_e32 v6, s0
	v_add_co_u32_e32 v0, vcc, s1, v0
	v_addc_co_u32_e32 v1, vcc, v1, v6, vcc
	v_mov_b32_e32 v7, s0
	v_add_co_u32_e32 v6, vcc, s1, v0
	v_addc_co_u32_e32 v7, vcc, v1, v7, vcc
	global_load_dwordx2 v[33:34], v35, s[8:9]
	global_load_dwordx2 v[31:32], v35, s[8:9] offset:1000
	global_load_dwordx2 v[29:30], v35, s[8:9] offset:2000
	global_load_dwordx2 v[8:9], v[0:1], off
	global_load_dwordx2 v[10:11], v[6:7], off
	global_load_dwordx2 v[27:28], v35, s[8:9] offset:3000
	v_mov_b32_e32 v1, s0
	v_add_co_u32_e32 v0, vcc, s1, v6
	v_addc_co_u32_e32 v1, vcc, v7, v1, vcc
	global_load_dwordx2 v[25:26], v35, s[8:9] offset:4000
	global_load_dwordx2 v[6:7], v[0:1], off
	s_load_dwordx4 s[0:3], s[2:3], 0x0
	s_waitcnt vmcnt(7)
	v_mul_f32_e32 v0, v3, v34
	v_mul_f32_e32 v1, v2, v34
	v_fmac_f32_e32 v0, v2, v33
	v_fma_f32 v1, v3, v33, -v1
	s_waitcnt vmcnt(6)
	v_mul_f32_e32 v2, v5, v32
	v_mul_f32_e32 v3, v4, v32
	v_fmac_f32_e32 v2, v4, v31
	v_fma_f32 v3, v5, v31, -v3
	s_waitcnt vmcnt(4)
	v_mul_f32_e32 v4, v9, v30
	v_mul_f32_e32 v5, v8, v30
	ds_write2_b64 v35, v[0:1], v[2:3] offset1:125
	s_waitcnt vmcnt(2)
	v_mul_f32_e32 v0, v11, v28
	v_mul_f32_e32 v1, v10, v28
	s_waitcnt vmcnt(0)
	v_mul_f32_e32 v2, v7, v26
	v_mul_f32_e32 v3, v6, v26
	v_fmac_f32_e32 v4, v8, v29
	v_fma_f32 v5, v9, v29, -v5
	v_fmac_f32_e32 v0, v10, v27
	v_fma_f32 v1, v11, v27, -v1
	;; [unrolled: 2-line block ×3, first 2 shown]
	ds_write2_b64 v37, v[4:5], v[0:1] offset0:122 offset1:247
	ds_write_b64 v35, v[2:3] offset:4000
	s_waitcnt lgkmcnt(0)
	s_barrier
	ds_read2_b64 v[0:3], v35 offset1:125
	ds_read2_b64 v[4:7], v37 offset0:122 offset1:247
	ds_read_b64 v[8:9], v35 offset:4000
	s_waitcnt lgkmcnt(0)
	s_barrier
	v_add_f32_e32 v10, v0, v2
	v_add_f32_e32 v11, v4, v6
	;; [unrolled: 1-line block ×4, first 2 shown]
	v_sub_f32_e32 v16, v2, v4
	v_sub_f32_e32 v17, v4, v2
	;; [unrolled: 1-line block ×3, first 2 shown]
	v_fma_f32 v2, -0.5, v11, v0
	v_add_f32_e32 v10, v10, v4
	v_add_f32_e32 v11, v18, v5
	;; [unrolled: 1-line block ×4, first 2 shown]
	v_sub_f32_e32 v12, v3, v9
	v_add_f32_e32 v15, v3, v9
	v_sub_f32_e32 v22, v8, v6
	v_sub_f32_e32 v23, v6, v8
	;; [unrolled: 1-line block ×3, first 2 shown]
	v_add_f32_e32 v10, v10, v8
	v_add_f32_e32 v11, v11, v9
	v_sub_f32_e32 v8, v7, v9
	v_sub_f32_e32 v9, v4, v6
	v_mov_b32_e32 v4, v2
	v_add_f32_e32 v14, v5, v7
	v_sub_f32_e32 v20, v3, v5
	v_sub_f32_e32 v21, v5, v3
	v_sub_f32_e32 v5, v5, v7
	v_fmac_f32_e32 v4, 0x3f737871, v12
	v_fmac_f32_e32 v2, 0xbf737871, v12
	v_fma_f32 v0, -0.5, v13, v0
	v_add_f32_e32 v6, v16, v22
	v_fmac_f32_e32 v4, 0x3f167918, v5
	v_fmac_f32_e32 v2, 0xbf167918, v5
	v_fma_f32 v3, -0.5, v14, v1
	v_fmac_f32_e32 v4, 0x3e9e377a, v6
	v_fmac_f32_e32 v2, 0x3e9e377a, v6
	v_mov_b32_e32 v6, v0
	v_fmac_f32_e32 v6, 0xbf737871, v5
	v_fmac_f32_e32 v0, 0x3f737871, v5
	v_mov_b32_e32 v5, v3
	v_add_f32_e32 v7, v17, v23
	v_fmac_f32_e32 v6, 0x3f167918, v12
	v_fmac_f32_e32 v0, 0xbf167918, v12
	;; [unrolled: 1-line block ×4, first 2 shown]
	v_fma_f32 v1, -0.5, v15, v1
	v_fmac_f32_e32 v6, 0x3e9e377a, v7
	v_fmac_f32_e32 v0, 0x3e9e377a, v7
	;; [unrolled: 1-line block ×3, first 2 shown]
	v_add_f32_e32 v7, v20, v38
	v_fmac_f32_e32 v3, 0x3f167918, v9
	v_fmac_f32_e32 v5, 0x3e9e377a, v7
	;; [unrolled: 1-line block ×3, first 2 shown]
	v_mov_b32_e32 v7, v1
	v_fmac_f32_e32 v7, 0x3f737871, v9
	v_fmac_f32_e32 v1, 0xbf737871, v9
	;; [unrolled: 1-line block ×3, first 2 shown]
	v_add_f32_e32 v8, v21, v8
	v_fmac_f32_e32 v1, 0x3f167918, v19
	v_fmac_f32_e32 v7, 0x3e9e377a, v8
	;; [unrolled: 1-line block ×3, first 2 shown]
	v_mul_lo_u16_e32 v8, 5, v36
	v_lshlrev_b32_e32 v39, 3, v8
	ds_write2_b64 v39, v[10:11], v[4:5] offset1:1
	ds_write2_b64 v39, v[6:7], v[0:1] offset0:2 offset1:3
	ds_write_b64 v39, v[2:3] offset:32
	v_mul_lo_u16_sdwa v0, v36, s6 dst_sel:DWORD dst_unused:UNUSED_PAD src0_sel:BYTE_0 src1_sel:DWORD
	v_lshrrev_b16_e32 v18, 10, v0
	v_mul_lo_u16_e32 v0, 5, v18
	v_sub_u16_e32 v0, v36, v0
	v_and_b32_e32 v19, 0xff, v0
	v_lshlrev_b32_e32 v8, 5, v19
	s_waitcnt lgkmcnt(0)
	s_barrier
	global_load_dwordx4 v[0:3], v8, s[10:11]
	global_load_dwordx4 v[4:7], v8, s[10:11] offset:16
	ds_read2_b64 v[8:11], v37 offset0:122 offset1:247
	ds_read_b64 v[16:17], v35 offset:4000
	ds_read2_b64 v[12:15], v35 offset1:125
	s_waitcnt vmcnt(0) lgkmcnt(0)
	s_barrier
	s_movk_i32 s6, 0x1000
	v_mul_f32_e32 v20, v9, v3
	v_mul_f32_e32 v22, v11, v5
	;; [unrolled: 1-line block ×8, first 2 shown]
	v_fma_f32 v20, v8, v2, -v20
	v_fma_f32 v22, v10, v4, -v22
	;; [unrolled: 1-line block ×3, first 2 shown]
	v_fmac_f32_e32 v40, v17, v6
	v_fma_f32 v17, v14, v0, -v41
	v_fmac_f32_e32 v21, v9, v2
	v_fmac_f32_e32 v23, v11, v4
	;; [unrolled: 1-line block ×3, first 2 shown]
	v_add_f32_e32 v8, v20, v22
	v_add_f32_e32 v10, v17, v16
	;; [unrolled: 1-line block ×6, first 2 shown]
	v_sub_f32_e32 v38, v17, v20
	v_fma_f32 v8, -0.5, v8, v12
	v_fma_f32 v10, -0.5, v10, v12
	v_sub_f32_e32 v12, v16, v22
	v_fma_f32 v9, -0.5, v9, v13
	v_fma_f32 v11, -0.5, v11, v13
	v_add_f32_e32 v41, v38, v12
	v_add_f32_e32 v12, v14, v20
	;; [unrolled: 1-line block ×3, first 2 shown]
	v_sub_f32_e32 v14, v42, v21
	v_sub_f32_e32 v15, v40, v23
	v_add_f32_e32 v43, v14, v15
	v_mul_u32_u24_e32 v14, 25, v18
	v_add_lshl_u32 v38, v14, v19, 3
	v_sub_f32_e32 v18, v42, v40
	v_mov_b32_e32 v14, v8
	v_mov_b32_e32 v15, v9
	v_sub_f32_e32 v44, v17, v16
	v_fmac_f32_e32 v14, 0x3f737871, v18
	v_sub_f32_e32 v19, v21, v23
	v_fmac_f32_e32 v15, 0xbf737871, v44
	v_sub_f32_e32 v45, v20, v22
	v_add_f32_e32 v12, v12, v22
	v_add_f32_e32 v13, v13, v23
	v_fmac_f32_e32 v14, 0x3f167918, v19
	v_fmac_f32_e32 v15, 0xbf167918, v45
	v_add_f32_e32 v12, v12, v16
	v_add_f32_e32 v13, v13, v40
	v_fmac_f32_e32 v14, 0x3e9e377a, v41
	v_fmac_f32_e32 v15, 0x3e9e377a, v43
	ds_write2_b64 v38, v[12:13], v[14:15] offset1:5
	v_sub_f32_e32 v12, v20, v17
	v_sub_f32_e32 v13, v22, v16
	v_add_f32_e32 v13, v12, v13
	v_mov_b32_e32 v12, v10
	v_fmac_f32_e32 v12, 0xbf737871, v19
	v_fmac_f32_e32 v10, 0x3f737871, v19
	;; [unrolled: 1-line block ×6, first 2 shown]
	v_sub_f32_e32 v13, v21, v42
	v_sub_f32_e32 v14, v23, v40
	v_add_f32_e32 v14, v13, v14
	v_mov_b32_e32 v13, v11
	v_fmac_f32_e32 v8, 0xbf737871, v18
	v_fmac_f32_e32 v13, 0x3f737871, v45
	;; [unrolled: 1-line block ×12, first 2 shown]
	ds_write2_b64 v38, v[12:13], v[10:11] offset0:10 offset1:15
	ds_write_b64 v38, v[8:9] offset:160
	v_mov_b32_e32 v8, 41
	v_mul_lo_u16_sdwa v8, v36, v8 dst_sel:DWORD dst_unused:UNUSED_PAD src0_sel:BYTE_0 src1_sel:DWORD
	v_lshrrev_b16_e32 v42, 10, v8
	v_mul_lo_u16_e32 v8, 25, v42
	v_sub_u16_e32 v8, v36, v8
	v_and_b32_e32 v43, 0xff, v8
	v_lshlrev_b32_e32 v12, 5, v43
	s_waitcnt lgkmcnt(0)
	s_barrier
	global_load_dwordx4 v[8:11], v12, s[10:11] offset:160
	global_load_dwordx4 v[16:19], v12, s[10:11] offset:176
	ds_read2_b64 v[12:15], v37 offset0:122 offset1:247
	ds_read_b64 v[40:41], v35 offset:4000
	ds_read2_b64 v[20:23], v35 offset1:125
	s_waitcnt vmcnt(0) lgkmcnt(0)
	s_barrier
	v_mul_f32_e32 v44, v13, v11
	v_mul_f32_e32 v46, v15, v17
	;; [unrolled: 1-line block ×5, first 2 shown]
	v_fma_f32 v46, v14, v16, -v46
	v_mul_f32_e32 v14, v23, v9
	v_mul_f32_e32 v45, v12, v11
	v_fma_f32 v44, v12, v10, -v44
	v_fma_f32 v48, v40, v18, -v48
	v_fmac_f32_e32 v49, v41, v18
	v_fma_f32 v41, v22, v8, -v14
	v_mul_f32_e32 v50, v22, v9
	v_fmac_f32_e32 v45, v13, v10
	v_fmac_f32_e32 v47, v15, v16
	;; [unrolled: 1-line block ×3, first 2 shown]
	v_sub_f32_e32 v22, v41, v44
	v_sub_f32_e32 v23, v48, v46
	v_add_f32_e32 v12, v44, v46
	v_add_f32_e32 v13, v45, v47
	;; [unrolled: 1-line block ×3, first 2 shown]
	v_sub_f32_e32 v22, v50, v45
	v_sub_f32_e32 v23, v49, v47
	v_fma_f32 v12, -0.5, v12, v20
	v_fma_f32 v13, -0.5, v13, v21
	v_add_f32_e32 v14, v41, v48
	v_add_f32_e32 v15, v50, v49
	;; [unrolled: 1-line block ×3, first 2 shown]
	v_mul_u32_u24_e32 v22, 0x7d, v42
	v_fma_f32 v14, -0.5, v14, v20
	v_fma_f32 v15, -0.5, v15, v21
	v_add_f32_e32 v20, v20, v41
	v_add_f32_e32 v21, v21, v50
	v_add_lshl_u32 v40, v22, v43, 3
	v_sub_f32_e32 v42, v50, v49
	v_mov_b32_e32 v22, v12
	v_mov_b32_e32 v23, v13
	v_sub_f32_e32 v53, v41, v48
	v_add_f32_e32 v20, v20, v44
	v_add_f32_e32 v21, v21, v45
	v_fmac_f32_e32 v22, 0x3f737871, v42
	v_sub_f32_e32 v43, v45, v47
	v_fmac_f32_e32 v23, 0xbf737871, v53
	v_sub_f32_e32 v54, v44, v46
	v_add_f32_e32 v20, v20, v46
	v_add_f32_e32 v21, v21, v47
	v_fmac_f32_e32 v22, 0x3f167918, v43
	v_fmac_f32_e32 v23, 0xbf167918, v54
	v_add_f32_e32 v20, v20, v48
	v_add_f32_e32 v21, v21, v49
	v_fmac_f32_e32 v22, 0x3e9e377a, v51
	v_fmac_f32_e32 v23, 0x3e9e377a, v52
	ds_write2_b64 v40, v[20:21], v[22:23] offset1:25
	v_sub_f32_e32 v20, v44, v41
	v_sub_f32_e32 v21, v46, v48
	v_add_f32_e32 v21, v20, v21
	v_mov_b32_e32 v20, v14
	v_fmac_f32_e32 v20, 0xbf737871, v43
	v_fmac_f32_e32 v14, 0x3f737871, v43
	;; [unrolled: 1-line block ×6, first 2 shown]
	v_sub_f32_e32 v21, v45, v50
	v_sub_f32_e32 v22, v47, v49
	v_add_f32_e32 v22, v21, v22
	v_mov_b32_e32 v21, v15
	v_fmac_f32_e32 v21, 0x3f737871, v54
	v_fmac_f32_e32 v15, 0xbf737871, v54
	;; [unrolled: 1-line block ×12, first 2 shown]
	v_lshlrev_b32_e32 v41, 5, v36
	ds_write2_b64 v40, v[20:21], v[14:15] offset0:50 offset1:75
	ds_write_b64 v40, v[12:13] offset:800
	s_waitcnt lgkmcnt(0)
	s_barrier
	global_load_dwordx4 v[12:15], v41, s[10:11] offset:960
	global_load_dwordx4 v[20:23], v41, s[10:11] offset:976
	ds_read2_b64 v[41:44], v37 offset0:122 offset1:247
	ds_read_b64 v[49:50], v35 offset:4000
	ds_read2_b64 v[45:48], v35 offset1:125
	s_waitcnt vmcnt(1) lgkmcnt(2)
	v_mul_f32_e32 v51, v42, v15
	s_waitcnt vmcnt(0)
	v_mul_f32_e32 v53, v44, v21
	s_waitcnt lgkmcnt(1)
	v_mul_f32_e32 v55, v50, v23
	v_mul_f32_e32 v52, v41, v15
	;; [unrolled: 1-line block ×3, first 2 shown]
	v_fma_f32 v53, v43, v20, -v53
	v_fma_f32 v55, v49, v22, -v55
	v_mul_f32_e32 v49, v49, v23
	s_waitcnt lgkmcnt(0)
	v_mul_f32_e32 v43, v48, v13
	v_fma_f32 v51, v41, v14, -v51
	v_fmac_f32_e32 v52, v42, v14
	v_fmac_f32_e32 v54, v44, v20
	;; [unrolled: 1-line block ×3, first 2 shown]
	v_fma_f32 v50, v47, v12, -v43
	v_mul_f32_e32 v56, v47, v13
	v_add_f32_e32 v41, v51, v53
	v_add_f32_e32 v42, v52, v54
	v_fmac_f32_e32 v56, v48, v12
	v_sub_f32_e32 v47, v50, v51
	v_sub_f32_e32 v48, v55, v53
	v_fma_f32 v41, -0.5, v41, v45
	v_fma_f32 v42, -0.5, v42, v46
	v_add_f32_e32 v43, v50, v55
	v_add_f32_e32 v44, v56, v49
	v_add_f32_e32 v57, v47, v48
	v_sub_f32_e32 v47, v56, v52
	v_sub_f32_e32 v48, v49, v54
	v_fma_f32 v43, -0.5, v43, v45
	v_fma_f32 v44, -0.5, v44, v46
	v_add_f32_e32 v45, v45, v50
	v_add_f32_e32 v46, v46, v56
	;; [unrolled: 1-line block ×3, first 2 shown]
	v_sub_f32_e32 v59, v56, v49
	v_mov_b32_e32 v47, v41
	v_mov_b32_e32 v48, v42
	v_sub_f32_e32 v61, v50, v55
	v_add_f32_e32 v45, v45, v51
	v_add_f32_e32 v46, v46, v52
	v_fmac_f32_e32 v47, 0x3f737871, v59
	v_sub_f32_e32 v60, v52, v54
	v_fmac_f32_e32 v48, 0xbf737871, v61
	v_sub_f32_e32 v62, v51, v53
	v_add_f32_e32 v45, v45, v53
	v_add_f32_e32 v46, v46, v54
	v_fmac_f32_e32 v47, 0x3f167918, v60
	v_fmac_f32_e32 v48, 0xbf167918, v62
	v_add_f32_e32 v45, v45, v55
	v_add_f32_e32 v46, v46, v49
	v_fmac_f32_e32 v47, 0x3e9e377a, v57
	v_fmac_f32_e32 v48, 0x3e9e377a, v58
	ds_write2_b64 v35, v[45:46], v[47:48] offset1:125
	v_sub_f32_e32 v45, v51, v50
	v_sub_f32_e32 v46, v53, v55
	v_add_f32_e32 v46, v45, v46
	v_mov_b32_e32 v45, v43
	v_fmac_f32_e32 v45, 0xbf737871, v60
	v_fmac_f32_e32 v43, 0x3f737871, v60
	;; [unrolled: 1-line block ×6, first 2 shown]
	v_sub_f32_e32 v46, v52, v56
	v_sub_f32_e32 v47, v54, v49
	v_add_f32_e32 v47, v46, v47
	v_mov_b32_e32 v46, v44
	v_fmac_f32_e32 v46, 0x3f737871, v62
	v_fmac_f32_e32 v44, 0xbf737871, v62
	;; [unrolled: 1-line block ×12, first 2 shown]
	ds_write2_b64 v37, v[45:46], v[43:44] offset0:122 offset1:247
	ds_write_b64 v35, v[41:42] offset:4000
	v_mov_b32_e32 v41, s9
	v_add_co_u32_e32 v43, vcc, s8, v35
	v_addc_co_u32_e32 v44, vcc, 0, v41, vcc
	v_add_co_u32_e32 v41, vcc, s6, v43
	v_addc_co_u32_e32 v42, vcc, 0, v44, vcc
	s_waitcnt lgkmcnt(0)
	s_barrier
	global_load_dwordx2 v[45:46], v[41:42], off offset:904
	s_movk_i32 s6, 0x1388
	v_add_co_u32_e32 v41, vcc, s6, v43
	v_addc_co_u32_e32 v42, vcc, 0, v44, vcc
	global_load_dwordx2 v[47:48], v[41:42], off offset:1000
	global_load_dwordx2 v[49:50], v[41:42], off offset:2000
	;; [unrolled: 1-line block ×4, first 2 shown]
	ds_read2_b64 v[41:44], v35 offset1:125
	s_waitcnt vmcnt(4) lgkmcnt(0)
	v_mul_f32_e32 v55, v42, v46
	v_mul_f32_e32 v56, v41, v46
	v_fma_f32 v55, v41, v45, -v55
	v_fmac_f32_e32 v56, v42, v45
	s_waitcnt vmcnt(3)
	v_mul_f32_e32 v41, v44, v48
	v_mul_f32_e32 v42, v43, v48
	v_fma_f32 v41, v43, v47, -v41
	v_fmac_f32_e32 v42, v44, v47
	ds_write2_b64 v35, v[55:56], v[41:42] offset1:125
	ds_read2_b64 v[41:44], v37 offset0:122 offset1:247
	s_waitcnt vmcnt(2) lgkmcnt(0)
	v_mul_f32_e32 v45, v42, v50
	v_mul_f32_e32 v46, v41, v50
	v_fma_f32 v45, v41, v49, -v45
	v_fmac_f32_e32 v46, v42, v49
	ds_read_b64 v[41:42], v35 offset:4000
	s_waitcnt vmcnt(1)
	v_mul_f32_e32 v47, v44, v52
	v_mul_f32_e32 v48, v43, v52
	v_fma_f32 v47, v43, v51, -v47
	v_fmac_f32_e32 v48, v44, v51
	s_waitcnt vmcnt(0) lgkmcnt(0)
	v_mul_f32_e32 v43, v42, v54
	v_mul_f32_e32 v44, v41, v54
	v_fma_f32 v43, v41, v53, -v43
	v_fmac_f32_e32 v44, v42, v53
	ds_write2_b64 v37, v[45:46], v[47:48] offset0:122 offset1:247
	ds_write_b64 v35, v[43:44] offset:4000
	s_waitcnt lgkmcnt(0)
	s_barrier
	ds_read2_b64 v[41:44], v37 offset0:122 offset1:247
	ds_read2_b64 v[45:48], v35 offset1:125
	ds_read_b64 v[49:50], v35 offset:4000
	s_waitcnt lgkmcnt(0)
	s_barrier
	v_add_f32_e32 v51, v41, v43
	v_add_f32_e32 v52, v42, v44
	;; [unrolled: 1-line block ×4, first 2 shown]
	v_fma_f32 v51, -0.5, v51, v45
	v_fma_f32 v52, -0.5, v52, v46
	;; [unrolled: 1-line block ×4, first 2 shown]
	v_add_f32_e32 v45, v45, v47
	v_add_f32_e32 v46, v46, v48
	;; [unrolled: 1-line block ×6, first 2 shown]
	v_sub_f32_e32 v55, v48, v50
	v_sub_f32_e32 v56, v47, v41
	;; [unrolled: 1-line block ×6, first 2 shown]
	v_add_f32_e32 v45, v45, v49
	v_add_f32_e32 v46, v46, v50
	v_sub_f32_e32 v59, v49, v43
	v_sub_f32_e32 v49, v43, v49
	;; [unrolled: 1-line block ×6, first 2 shown]
	v_mov_b32_e32 v41, v51
	v_mov_b32_e32 v42, v52
	v_fmac_f32_e32 v41, 0xbf737871, v55
	v_fmac_f32_e32 v42, 0x3f737871, v47
	v_add_f32_e32 v56, v56, v59
	v_add_f32_e32 v58, v58, v60
	v_fmac_f32_e32 v41, 0xbf167918, v44
	v_fmac_f32_e32 v42, 0x3f167918, v43
	;; [unrolled: 1-line block ×4, first 2 shown]
	ds_write2_b64 v39, v[45:46], v[41:42] offset1:1
	v_mov_b32_e32 v41, v53
	v_fmac_f32_e32 v41, 0x3f737871, v44
	v_fmac_f32_e32 v53, 0xbf737871, v44
	v_add_f32_e32 v42, v57, v49
	v_fmac_f32_e32 v41, 0xbf167918, v55
	v_fmac_f32_e32 v53, 0x3f167918, v55
	;; [unrolled: 1-line block ×4, first 2 shown]
	v_mov_b32_e32 v42, v54
	v_fmac_f32_e32 v42, 0xbf737871, v43
	v_fmac_f32_e32 v54, 0x3f737871, v43
	v_fmac_f32_e32 v51, 0x3f737871, v55
	v_fmac_f32_e32 v52, 0xbf737871, v47
	v_add_f32_e32 v45, v48, v50
	v_fmac_f32_e32 v42, 0x3f167918, v47
	v_fmac_f32_e32 v54, 0xbf167918, v47
	;; [unrolled: 1-line block ×8, first 2 shown]
	ds_write2_b64 v39, v[41:42], v[53:54] offset0:2 offset1:3
	ds_write_b64 v39, v[51:52] offset:32
	s_waitcnt lgkmcnt(0)
	s_barrier
	ds_read_b64 v[45:46], v35 offset:4000
	ds_read2_b64 v[41:44], v37 offset0:122 offset1:247
	s_waitcnt lgkmcnt(1)
	v_mul_f32_e32 v39, v7, v46
	v_mul_f32_e32 v7, v7, v45
	v_fmac_f32_e32 v39, v6, v45
	v_fma_f32 v45, v6, v46, -v7
	s_waitcnt lgkmcnt(0)
	v_mul_f32_e32 v46, v5, v44
	v_mul_f32_e32 v5, v5, v43
	v_fmac_f32_e32 v46, v4, v43
	v_fma_f32 v43, v4, v44, -v5
	ds_read2_b64 v[4:7], v35 offset1:125
	v_mul_f32_e32 v44, v3, v42
	v_mul_f32_e32 v3, v3, v41
	v_fmac_f32_e32 v44, v2, v41
	v_fma_f32 v41, v2, v42, -v3
	s_waitcnt lgkmcnt(0)
	v_mul_f32_e32 v42, v1, v7
	v_fmac_f32_e32 v42, v0, v6
	v_mul_f32_e32 v1, v1, v6
	v_fma_f32 v47, v0, v7, -v1
	v_add_f32_e32 v0, v44, v46
	v_add_f32_e32 v1, v41, v43
	v_sub_f32_e32 v6, v42, v44
	v_sub_f32_e32 v7, v39, v46
	v_fma_f32 v0, -0.5, v0, v4
	v_fma_f32 v1, -0.5, v1, v5
	v_add_f32_e32 v2, v42, v39
	v_add_f32_e32 v3, v47, v45
	;; [unrolled: 1-line block ×3, first 2 shown]
	v_sub_f32_e32 v6, v47, v41
	v_sub_f32_e32 v7, v45, v43
	v_fma_f32 v2, -0.5, v2, v4
	v_fma_f32 v3, -0.5, v3, v5
	v_add_f32_e32 v4, v4, v42
	v_add_f32_e32 v5, v5, v47
	;; [unrolled: 1-line block ×3, first 2 shown]
	v_sub_f32_e32 v50, v47, v45
	v_mov_b32_e32 v6, v0
	v_mov_b32_e32 v7, v1
	v_sub_f32_e32 v52, v42, v39
	v_add_f32_e32 v4, v4, v44
	v_add_f32_e32 v5, v5, v41
	v_fmac_f32_e32 v6, 0xbf737871, v50
	v_sub_f32_e32 v51, v41, v43
	v_fmac_f32_e32 v7, 0x3f737871, v52
	v_sub_f32_e32 v53, v44, v46
	v_add_f32_e32 v4, v4, v46
	v_add_f32_e32 v5, v5, v43
	v_fmac_f32_e32 v6, 0xbf167918, v51
	v_fmac_f32_e32 v7, 0x3f167918, v53
	v_add_f32_e32 v4, v4, v39
	v_add_f32_e32 v5, v5, v45
	v_fmac_f32_e32 v6, 0x3e9e377a, v48
	v_fmac_f32_e32 v7, 0x3e9e377a, v49
	s_barrier
	ds_write2_b64 v38, v[4:5], v[6:7] offset1:5
	v_sub_f32_e32 v4, v44, v42
	v_sub_f32_e32 v5, v46, v39
	v_add_f32_e32 v5, v4, v5
	v_mov_b32_e32 v4, v2
	v_fmac_f32_e32 v4, 0x3f737871, v51
	v_fmac_f32_e32 v2, 0xbf737871, v51
	;; [unrolled: 1-line block ×6, first 2 shown]
	v_sub_f32_e32 v5, v41, v47
	v_sub_f32_e32 v6, v43, v45
	v_add_f32_e32 v6, v5, v6
	v_mov_b32_e32 v5, v3
	v_fmac_f32_e32 v5, 0xbf737871, v53
	v_fmac_f32_e32 v3, 0x3f737871, v53
	;; [unrolled: 1-line block ×12, first 2 shown]
	ds_write2_b64 v38, v[4:5], v[2:3] offset0:10 offset1:15
	ds_write_b64 v38, v[0:1] offset:160
	s_waitcnt lgkmcnt(0)
	s_barrier
	ds_read_b64 v[4:5], v35 offset:4000
	ds_read2_b64 v[0:3], v37 offset0:122 offset1:247
	s_waitcnt lgkmcnt(1)
	v_mul_f32_e32 v38, v19, v5
	v_fmac_f32_e32 v38, v18, v4
	v_mul_f32_e32 v4, v19, v4
	s_waitcnt lgkmcnt(0)
	v_mul_f32_e32 v19, v17, v3
	v_fmac_f32_e32 v19, v16, v2
	v_mul_f32_e32 v2, v17, v2
	v_fma_f32 v18, v18, v5, -v4
	v_fma_f32 v16, v16, v3, -v2
	ds_read2_b64 v[2:5], v35 offset1:125
	v_mul_f32_e32 v17, v11, v1
	v_fmac_f32_e32 v17, v10, v0
	v_mul_f32_e32 v0, v11, v0
	v_fma_f32 v10, v10, v1, -v0
	s_waitcnt lgkmcnt(0)
	v_mul_f32_e32 v11, v9, v5
	v_fmac_f32_e32 v11, v8, v4
	v_mul_f32_e32 v0, v9, v4
	v_fma_f32 v8, v8, v5, -v0
	v_add_f32_e32 v0, v17, v19
	v_add_f32_e32 v1, v10, v16
	v_sub_f32_e32 v6, v11, v17
	v_sub_f32_e32 v7, v38, v19
	v_fma_f32 v0, -0.5, v0, v2
	v_fma_f32 v1, -0.5, v1, v3
	v_add_f32_e32 v4, v11, v38
	v_add_f32_e32 v5, v8, v18
	;; [unrolled: 1-line block ×3, first 2 shown]
	v_sub_f32_e32 v6, v8, v10
	v_sub_f32_e32 v7, v18, v16
	v_fma_f32 v4, -0.5, v4, v2
	v_fma_f32 v5, -0.5, v5, v3
	v_add_f32_e32 v2, v2, v11
	v_add_f32_e32 v3, v3, v8
	;; [unrolled: 1-line block ×3, first 2 shown]
	v_sub_f32_e32 v41, v8, v18
	v_mov_b32_e32 v6, v0
	v_mov_b32_e32 v7, v1
	v_sub_f32_e32 v43, v11, v38
	v_add_f32_e32 v2, v2, v17
	v_add_f32_e32 v3, v3, v10
	v_fmac_f32_e32 v6, 0xbf737871, v41
	v_sub_f32_e32 v42, v10, v16
	v_fmac_f32_e32 v7, 0x3f737871, v43
	v_sub_f32_e32 v44, v17, v19
	v_add_f32_e32 v2, v2, v19
	v_add_f32_e32 v3, v3, v16
	v_fmac_f32_e32 v6, 0xbf167918, v42
	v_fmac_f32_e32 v7, 0x3f167918, v44
	v_add_f32_e32 v2, v2, v38
	v_add_f32_e32 v3, v3, v18
	v_fmac_f32_e32 v6, 0x3e9e377a, v9
	v_fmac_f32_e32 v7, 0x3e9e377a, v39
	s_barrier
	ds_write2_b64 v40, v[2:3], v[6:7] offset1:25
	v_sub_f32_e32 v2, v17, v11
	v_sub_f32_e32 v3, v19, v38
	v_add_f32_e32 v3, v2, v3
	v_mov_b32_e32 v2, v4
	v_fmac_f32_e32 v2, 0x3f737871, v42
	v_fmac_f32_e32 v4, 0xbf737871, v42
	;; [unrolled: 1-line block ×6, first 2 shown]
	v_sub_f32_e32 v3, v10, v8
	v_sub_f32_e32 v6, v16, v18
	v_add_f32_e32 v6, v3, v6
	v_mov_b32_e32 v3, v5
	v_fmac_f32_e32 v0, 0x3f737871, v41
	v_fmac_f32_e32 v1, 0xbf737871, v43
	;; [unrolled: 1-line block ×12, first 2 shown]
	ds_write2_b64 v40, v[2:3], v[4:5] offset0:50 offset1:75
	ds_write_b64 v40, v[0:1] offset:800
	s_waitcnt lgkmcnt(0)
	s_barrier
	ds_read2_b64 v[0:3], v37 offset0:122 offset1:247
	ds_read_b64 v[4:5], v35 offset:4000
	s_waitcnt lgkmcnt(1)
	v_mul_f32_e32 v7, v15, v1
	v_fmac_f32_e32 v7, v14, v0
	v_mul_f32_e32 v0, v15, v0
	v_fma_f32 v10, v14, v1, -v0
	v_mul_f32_e32 v11, v21, v3
	v_mul_f32_e32 v0, v21, v2
	v_fmac_f32_e32 v11, v20, v2
	v_fma_f32 v14, v20, v3, -v0
	ds_read2_b64 v[0:3], v35 offset1:125
	s_waitcnt lgkmcnt(1)
	v_mul_f32_e32 v15, v23, v5
	v_fmac_f32_e32 v15, v22, v4
	v_mul_f32_e32 v4, v23, v4
	v_fma_f32 v16, v22, v5, -v4
	s_waitcnt lgkmcnt(0)
	v_mul_f32_e32 v17, v13, v3
	v_fmac_f32_e32 v17, v12, v2
	v_mul_f32_e32 v2, v13, v2
	v_fma_f32 v12, v12, v3, -v2
	v_add_f32_e32 v2, v7, v11
	v_add_f32_e32 v3, v17, v15
	v_fma_f32 v2, -0.5, v2, v0
	v_fma_f32 v4, -0.5, v3, v0
	v_add_f32_e32 v8, v0, v17
	v_sub_f32_e32 v0, v17, v7
	v_sub_f32_e32 v6, v15, v11
	v_sub_f32_e32 v9, v12, v16
	v_add_f32_e32 v6, v0, v6
	v_mov_b32_e32 v0, v2
	v_fmac_f32_e32 v0, 0xbf737871, v9
	v_sub_f32_e32 v13, v10, v14
	v_fmac_f32_e32 v2, 0x3f737871, v9
	v_add_f32_e32 v3, v10, v14
	v_add_f32_e32 v5, v12, v16
	v_fmac_f32_e32 v0, 0xbf167918, v13
	v_fmac_f32_e32 v2, 0x3f167918, v13
	v_fma_f32 v3, -0.5, v3, v1
	v_fma_f32 v5, -0.5, v5, v1
	v_add_f32_e32 v1, v1, v12
	v_fmac_f32_e32 v0, 0x3e9e377a, v6
	v_fmac_f32_e32 v2, 0x3e9e377a, v6
	v_sub_f32_e32 v6, v7, v17
	v_sub_f32_e32 v18, v11, v15
	v_add_f32_e32 v18, v6, v18
	v_mov_b32_e32 v6, v4
	v_add_f32_e32 v8, v8, v7
	v_add_f32_e32 v1, v1, v10
	v_fmac_f32_e32 v6, 0x3f737871, v13
	v_fmac_f32_e32 v4, 0xbf737871, v13
	v_add_f32_e32 v8, v8, v11
	v_add_f32_e32 v1, v1, v14
	v_fmac_f32_e32 v6, 0xbf167918, v9
	v_fmac_f32_e32 v4, 0x3f167918, v9
	v_add_f32_e32 v8, v8, v15
	v_add_f32_e32 v9, v1, v16
	v_sub_f32_e32 v13, v17, v15
	v_sub_f32_e32 v15, v7, v11
	;; [unrolled: 1-line block ×4, first 2 shown]
	v_add_f32_e32 v7, v1, v7
	v_mov_b32_e32 v1, v3
	v_fmac_f32_e32 v1, 0x3f737871, v13
	v_fmac_f32_e32 v3, 0xbf737871, v13
	;; [unrolled: 1-line block ×6, first 2 shown]
	v_mov_b32_e32 v7, v5
	v_sub_f32_e32 v12, v10, v12
	v_fmac_f32_e32 v7, 0xbf737871, v15
	v_sub_f32_e32 v14, v14, v16
	v_fmac_f32_e32 v5, 0x3f737871, v15
	v_fmac_f32_e32 v7, 0x3f167918, v13
	v_add_f32_e32 v12, v12, v14
	v_fmac_f32_e32 v5, 0xbf167918, v13
	v_fmac_f32_e32 v6, 0x3e9e377a, v18
	;; [unrolled: 1-line block ×5, first 2 shown]
	ds_write2_b64 v35, v[8:9], v[0:1] offset1:125
	ds_write2_b64 v37, v[6:7], v[4:5] offset0:122 offset1:247
	ds_write_b64 v35, v[2:3] offset:4000
	s_waitcnt lgkmcnt(0)
	s_barrier
	ds_read2_b64 v[0:3], v35 offset1:125
	v_mad_u64_u32 v[10:11], s[6:7], s2, v24, 0
	s_load_dwordx2 s[6:7], s[4:5], 0x38
	s_mov_b32 s4, 0xeb1c432d
	s_waitcnt lgkmcnt(0)
	v_mul_f32_e32 v5, v34, v1
	v_fmac_f32_e32 v5, v33, v0
	v_cvt_f64_f32_e32 v[5:6], v5
	v_mul_f32_e32 v0, v34, v0
	s_mov_b32 s5, 0x3f5a36e2
	v_fma_f32 v0, v33, v1, -v0
	v_cvt_f64_f32_e32 v[0:1], v0
	v_mul_f64 v[5:6], v[5:6], s[4:5]
	v_mad_u64_u32 v[7:8], s[8:9], s0, v36, 0
	v_mul_f64 v[0:1], v[0:1], s[4:5]
	v_mov_b32_e32 v4, v11
	v_mad_u64_u32 v[11:12], s[2:3], s3, v24, v[4:5]
	v_mov_b32_e32 v4, v8
	v_mad_u64_u32 v[8:9], s[2:3], s1, v36, v[4:5]
	v_mul_f32_e32 v9, v32, v3
	v_fmac_f32_e32 v9, v31, v2
	v_cvt_f32_f64_e32 v4, v[5:6]
	v_cvt_f32_f64_e32 v5, v[0:1]
	v_lshlrev_b64 v[0:1], 3, v[10:11]
	v_cvt_f64_f32_e32 v[9:10], v9
	v_mul_f32_e32 v2, v32, v2
	v_fma_f32 v2, v31, v3, -v2
	v_mov_b32_e32 v6, s7
	v_cvt_f64_f32_e32 v[2:3], v2
	v_add_co_u32_e32 v11, vcc, s6, v0
	v_addc_co_u32_e32 v12, vcc, v6, v1, vcc
	v_lshlrev_b64 v[0:1], 3, v[7:8]
	v_mul_f64 v[6:7], v[9:10], s[4:5]
	v_add_co_u32_e32 v10, vcc, v11, v0
	v_mul_f64 v[8:9], v[2:3], s[4:5]
	v_addc_co_u32_e32 v11, vcc, v12, v1, vcc
	ds_read2_b64 v[0:3], v37 offset0:122 offset1:247
	global_store_dwordx2 v[10:11], v[4:5], off
	v_cvt_f32_f64_e32 v4, v[6:7]
	s_mulk_i32 s1, 0x3e8
	s_mul_hi_u32 s2, s0, 0x3e8
	s_waitcnt lgkmcnt(0)
	v_mul_f32_e32 v6, v30, v1
	v_fmac_f32_e32 v6, v29, v0
	v_mul_f32_e32 v0, v30, v0
	v_fma_f32 v0, v29, v1, -v0
	v_cvt_f64_f32_e32 v[0:1], v0
	v_cvt_f64_f32_e32 v[6:7], v6
	v_cvt_f32_f64_e32 v5, v[8:9]
	s_add_i32 s1, s2, s1
	v_mul_f64 v[0:1], v[0:1], s[4:5]
	v_mul_f64 v[6:7], v[6:7], s[4:5]
	s_mulk_i32 s0, 0x3e8
	v_mov_b32_e32 v9, s1
	v_add_co_u32_e32 v8, vcc, s0, v10
	v_addc_co_u32_e32 v9, vcc, v11, v9, vcc
	global_store_dwordx2 v[8:9], v[4:5], off
	v_cvt_f32_f64_e32 v5, v[0:1]
	v_mul_f32_e32 v0, v28, v3
	v_fmac_f32_e32 v0, v27, v2
	v_mul_f32_e32 v2, v28, v2
	v_fma_f32 v2, v27, v3, -v2
	v_cvt_f32_f64_e32 v4, v[6:7]
	v_cvt_f64_f32_e32 v[0:1], v0
	v_cvt_f64_f32_e32 v[2:3], v2
	ds_read_b64 v[6:7], v35 offset:4000
	v_mov_b32_e32 v10, s1
	v_add_co_u32_e32 v8, vcc, s0, v8
	v_addc_co_u32_e32 v9, vcc, v9, v10, vcc
	v_mul_f64 v[0:1], v[0:1], s[4:5]
	v_mul_f64 v[2:3], v[2:3], s[4:5]
	global_store_dwordx2 v[8:9], v[4:5], off
	s_waitcnt lgkmcnt(0)
	v_mul_f32_e32 v4, v26, v7
	v_fmac_f32_e32 v4, v25, v6
	v_mul_f32_e32 v6, v26, v6
	v_fma_f32 v6, v25, v7, -v6
	v_cvt_f64_f32_e32 v[4:5], v4
	v_cvt_f64_f32_e32 v[6:7], v6
	v_cvt_f32_f64_e32 v0, v[0:1]
	v_cvt_f32_f64_e32 v1, v[2:3]
	v_mul_f64 v[2:3], v[4:5], s[4:5]
	v_mul_f64 v[4:5], v[6:7], s[4:5]
	v_mov_b32_e32 v7, s1
	v_add_co_u32_e32 v6, vcc, s0, v8
	v_addc_co_u32_e32 v7, vcc, v9, v7, vcc
	global_store_dwordx2 v[6:7], v[0:1], off
	v_cvt_f32_f64_e32 v0, v[2:3]
	v_cvt_f32_f64_e32 v1, v[4:5]
	v_mov_b32_e32 v3, s1
	v_add_co_u32_e32 v2, vcc, s0, v6
	v_addc_co_u32_e32 v3, vcc, v7, v3, vcc
	global_store_dwordx2 v[2:3], v[0:1], off
.LBB0_2:
	s_endpgm
	.section	.rodata,"a",@progbits
	.p2align	6, 0x0
	.amdhsa_kernel bluestein_single_fwd_len625_dim1_sp_op_CI_CI
		.amdhsa_group_segment_fixed_size 5000
		.amdhsa_private_segment_fixed_size 0
		.amdhsa_kernarg_size 104
		.amdhsa_user_sgpr_count 6
		.amdhsa_user_sgpr_private_segment_buffer 1
		.amdhsa_user_sgpr_dispatch_ptr 0
		.amdhsa_user_sgpr_queue_ptr 0
		.amdhsa_user_sgpr_kernarg_segment_ptr 1
		.amdhsa_user_sgpr_dispatch_id 0
		.amdhsa_user_sgpr_flat_scratch_init 0
		.amdhsa_user_sgpr_private_segment_size 0
		.amdhsa_uses_dynamic_stack 0
		.amdhsa_system_sgpr_private_segment_wavefront_offset 0
		.amdhsa_system_sgpr_workgroup_id_x 1
		.amdhsa_system_sgpr_workgroup_id_y 0
		.amdhsa_system_sgpr_workgroup_id_z 0
		.amdhsa_system_sgpr_workgroup_info 0
		.amdhsa_system_vgpr_workitem_id 0
		.amdhsa_next_free_vgpr 63
		.amdhsa_next_free_sgpr 20
		.amdhsa_reserve_vcc 1
		.amdhsa_reserve_flat_scratch 0
		.amdhsa_float_round_mode_32 0
		.amdhsa_float_round_mode_16_64 0
		.amdhsa_float_denorm_mode_32 3
		.amdhsa_float_denorm_mode_16_64 3
		.amdhsa_dx10_clamp 1
		.amdhsa_ieee_mode 1
		.amdhsa_fp16_overflow 0
		.amdhsa_exception_fp_ieee_invalid_op 0
		.amdhsa_exception_fp_denorm_src 0
		.amdhsa_exception_fp_ieee_div_zero 0
		.amdhsa_exception_fp_ieee_overflow 0
		.amdhsa_exception_fp_ieee_underflow 0
		.amdhsa_exception_fp_ieee_inexact 0
		.amdhsa_exception_int_div_zero 0
	.end_amdhsa_kernel
	.text
.Lfunc_end0:
	.size	bluestein_single_fwd_len625_dim1_sp_op_CI_CI, .Lfunc_end0-bluestein_single_fwd_len625_dim1_sp_op_CI_CI
                                        ; -- End function
	.section	.AMDGPU.csdata,"",@progbits
; Kernel info:
; codeLenInByte = 5252
; NumSgprs: 24
; NumVgprs: 63
; ScratchSize: 0
; MemoryBound: 0
; FloatMode: 240
; IeeeMode: 1
; LDSByteSize: 5000 bytes/workgroup (compile time only)
; SGPRBlocks: 2
; VGPRBlocks: 15
; NumSGPRsForWavesPerEU: 24
; NumVGPRsForWavesPerEU: 63
; Occupancy: 4
; WaveLimiterHint : 1
; COMPUTE_PGM_RSRC2:SCRATCH_EN: 0
; COMPUTE_PGM_RSRC2:USER_SGPR: 6
; COMPUTE_PGM_RSRC2:TRAP_HANDLER: 0
; COMPUTE_PGM_RSRC2:TGID_X_EN: 1
; COMPUTE_PGM_RSRC2:TGID_Y_EN: 0
; COMPUTE_PGM_RSRC2:TGID_Z_EN: 0
; COMPUTE_PGM_RSRC2:TIDIG_COMP_CNT: 0
	.type	__hip_cuid_6174a8d99b213046,@object ; @__hip_cuid_6174a8d99b213046
	.section	.bss,"aw",@nobits
	.globl	__hip_cuid_6174a8d99b213046
__hip_cuid_6174a8d99b213046:
	.byte	0                               ; 0x0
	.size	__hip_cuid_6174a8d99b213046, 1

	.ident	"AMD clang version 19.0.0git (https://github.com/RadeonOpenCompute/llvm-project roc-6.4.0 25133 c7fe45cf4b819c5991fe208aaa96edf142730f1d)"
	.section	".note.GNU-stack","",@progbits
	.addrsig
	.addrsig_sym __hip_cuid_6174a8d99b213046
	.amdgpu_metadata
---
amdhsa.kernels:
  - .args:
      - .actual_access:  read_only
        .address_space:  global
        .offset:         0
        .size:           8
        .value_kind:     global_buffer
      - .actual_access:  read_only
        .address_space:  global
        .offset:         8
        .size:           8
        .value_kind:     global_buffer
      - .actual_access:  read_only
        .address_space:  global
        .offset:         16
        .size:           8
        .value_kind:     global_buffer
      - .actual_access:  read_only
        .address_space:  global
        .offset:         24
        .size:           8
        .value_kind:     global_buffer
      - .actual_access:  read_only
        .address_space:  global
        .offset:         32
        .size:           8
        .value_kind:     global_buffer
      - .offset:         40
        .size:           8
        .value_kind:     by_value
      - .address_space:  global
        .offset:         48
        .size:           8
        .value_kind:     global_buffer
      - .address_space:  global
        .offset:         56
        .size:           8
        .value_kind:     global_buffer
      - .address_space:  global
        .offset:         64
        .size:           8
        .value_kind:     global_buffer
      - .address_space:  global
        .offset:         72
        .size:           8
        .value_kind:     global_buffer
      - .offset:         80
        .size:           4
        .value_kind:     by_value
      - .address_space:  global
        .offset:         88
        .size:           8
        .value_kind:     global_buffer
      - .address_space:  global
        .offset:         96
        .size:           8
        .value_kind:     global_buffer
    .group_segment_fixed_size: 5000
    .kernarg_segment_align: 8
    .kernarg_segment_size: 104
    .language:       OpenCL C
    .language_version:
      - 2
      - 0
    .max_flat_workgroup_size: 125
    .name:           bluestein_single_fwd_len625_dim1_sp_op_CI_CI
    .private_segment_fixed_size: 0
    .sgpr_count:     24
    .sgpr_spill_count: 0
    .symbol:         bluestein_single_fwd_len625_dim1_sp_op_CI_CI.kd
    .uniform_work_group_size: 1
    .uses_dynamic_stack: false
    .vgpr_count:     63
    .vgpr_spill_count: 0
    .wavefront_size: 64
amdhsa.target:   amdgcn-amd-amdhsa--gfx906
amdhsa.version:
  - 1
  - 2
...

	.end_amdgpu_metadata
